;; amdgpu-corpus repo=zjin-lcf/HeCBench kind=compiled arch=gfx1250 opt=O3
	.amdgcn_target "amdgcn-amd-amdhsa--gfx1250"
	.amdhsa_code_object_version 6
	.text
	.protected	_Z16pair_HMM_forwardiiPA41_A4_A2_KdPA4_A2_A3_S_S3_PA2_S1_PS0_PA41_A4_A2_d ; -- Begin function _Z16pair_HMM_forwardiiPA41_A4_A2_KdPA4_A2_A3_S_S3_PA2_S1_PS0_PA41_A4_A2_d
	.globl	_Z16pair_HMM_forwardiiPA41_A4_A2_KdPA4_A2_A3_S_S3_PA2_S1_PS0_PA41_A4_A2_d
	.p2align	8
	.type	_Z16pair_HMM_forwardiiPA41_A4_A2_KdPA4_A2_A3_S_S3_PA2_S1_PS0_PA41_A4_A2_d,@function
_Z16pair_HMM_forwardiiPA41_A4_A2_KdPA4_A2_A3_S_S3_PA2_S1_PS0_PA41_A4_A2_d: ; @_Z16pair_HMM_forwardiiPA41_A4_A2_KdPA4_A2_A3_S_S3_PA2_S1_PS0_PA41_A4_A2_d
; %bb.0:
	s_load_b256 s[4:11], s[0:1], 0x0
	s_bfe_u32 s2, ttmp6, 0x4000c
	s_and_b32 s3, ttmp6, 15
	s_add_co_i32 s2, s2, 1
	s_getreg_b32 s12, hwreg(HW_REG_IB_STS2, 6, 4)
	s_mul_i32 s2, ttmp9, s2
	s_mov_b64 s[22:23], 0xffffffffffffff40
	s_add_co_i32 s3, s3, s2
	s_mov_b64 s[34:35], 0xffffffffffffff58
	s_wait_kmcnt 0x0
	s_ashr_i32 s21, s5, 31
	s_mov_b32 s20, s5
	s_ashr_i32 s19, s4, 31
	s_lshl_b64 s[16:17], s[20:21], 6
	s_mov_b32 s18, s4
	s_cmp_eq_u32 s12, 0
	s_mul_u64 s[12:13], s[18:19], 0xa40
	s_cselect_b32 s14, ttmp9, s3
	s_add_nc_u64 s[2:3], s[10:11], s[12:13]
	s_ashr_i32 s15, s14, 31
	s_add_nc_u64 s[10:11], s[2:3], s[16:17]
	s_lshl_b64 s[2:3], s[14:15], 4
	s_delay_alu instid0(SALU_CYCLE_1)
	s_add_nc_u64 s[10:11], s[10:11], s[2:3]
	global_load_b64 v[18:19], v0, s[10:11] scale_offset
	s_wait_xcnt 0x0
	s_mul_u64 s[10:11], s[18:19], 0xc0
	s_mov_b32 s19, -1
	s_add_nc_u64 s[8:9], s[8:9], s[10:11]
	s_mul_u64 s[10:11], s[14:15], 48
	s_lshl_b32 s15, s14, 4
	s_add_nc_u64 s[8:9], s[8:9], s[10:11]
	s_clause 0x1
	s_load_b128 s[24:27], s[8:9], 0x0
	s_load_b128 s[28:31], s[8:9], 0x18
	s_add_nc_u64 s[10:11], s[8:9], s[22:23]
	s_wait_xcnt 0x0
	s_add_nc_u64 s[8:9], s[8:9], s[34:35]
	s_clause 0x1
	s_load_b128 s[36:39], s[10:11], 0x0
	s_load_b128 s[40:43], s[8:9], 0x0
	s_wait_xcnt 0x0
	s_lshl_b32 s10, s14, 5
	s_add_co_i32 s11, s15, 0x100
	s_cmp_gt_i32 s4, 0
	v_lshl_add_u32 v1, v0, 3, s11
	s_cselect_b32 s15, -1, 0
	s_cmp_lt_i32 s4, 1
	s_cselect_b32 s21, -1, 0
	s_cmp_lg_u32 s5, 0
	s_clause 0x1
	s_load_b64 s[8:9], s[0:1], 0x20
	s_load_b64 s[4:5], s[0:1], 0x30
	s_cselect_b32 s22, -1, 0
	s_delay_alu instid0(SALU_CYCLE_1) | instskip(NEXT) | instid1(SALU_CYCLE_1)
	s_or_b32 s21, s21, s22
	s_and_b32 vcc_lo, exec_lo, s21
	s_wait_kmcnt 0x0
	v_mov_b64_e32 v[2:3], s[24:25]
	v_mov_b64_e32 v[4:5], s[26:27]
	;; [unrolled: 1-line block ×8, first 2 shown]
	s_clause 0x7
	scratch_store_b128 off, v[2:5], s10 offset:256
	scratch_store_b128 off, v[6:9], s10 offset:272
	;; [unrolled: 1-line block ×4, first 2 shown]
	scratch_store_b128 off, v[10:13], s10
	scratch_store_b128 off, v[14:17], s10 offset:16
	scratch_store_b128 off, v[10:13], s10 offset:128
	;; [unrolled: 1-line block ×3, first 2 shown]
	s_wait_loadcnt 0x0
	ds_store_b64 v1, v[18:19]
	s_wait_storecnt_dscnt 0x0
	s_barrier_signal -1
	s_barrier_wait -1
	s_cbranch_vccz .LBB0_4
; %bb.1:
	s_cmp_lt_i32 s20, 1
	s_cselect_b32 s19, -1, 0
	s_xor_b32 s15, s15, -1
	s_delay_alu instid0(SALU_CYCLE_1) | instskip(NEXT) | instid1(SALU_CYCLE_1)
	s_or_b32 s15, s15, s19
	s_and_b32 vcc_lo, exec_lo, s15
	s_cbranch_vccnz .LBB0_3
; %bb.2:
	s_add_co_i32 s20, s20, -1
	s_mov_b32 s21, 0
	s_add_nc_u64 s[22:23], s[6:7], s[12:13]
	s_lshl_b64 s[20:21], s[20:21], 6
	s_lshl_b32 s15, s14, 4
	s_add_nc_u64 s[20:21], s[22:23], s[20:21]
	s_add_nc_u64 s[22:23], s[22:23], s[16:17]
	;; [unrolled: 1-line block ×3, first 2 shown]
	s_mov_b64 s[20:21], 0xfffffffffffff5c0
	s_add_nc_u64 s[40:41], s[22:23], s[2:3]
	s_add_nc_u64 s[42:43], s[34:35], s[20:21]
	;; [unrolled: 1-line block ×3, first 2 shown]
	s_clause 0x3
	s_load_b128 s[20:23], s[42:43], 0x0
	s_load_b128 s[24:27], s[44:45], 0x0
	;; [unrolled: 1-line block ×4, first 2 shown]
	s_add_co_i32 s19, s15, 0x200
	s_wait_kmcnt 0x0
	v_mov_b64_e32 v[2:3], s[20:21]
	v_mov_b64_e32 v[4:5], s[22:23]
	;; [unrolled: 1-line block ×8, first 2 shown]
	s_clause 0x3
	scratch_store_b128 off, v[2:5], s19
	scratch_store_b128 off, v[6:9], s19 offset:64
	scratch_store_b128 off, v[10:13], s19 offset:128
	;; [unrolled: 1-line block ×3, first 2 shown]
	s_wait_storecnt 0x0
	s_barrier_signal -1
	s_barrier_wait -1
	s_clause 0x1
	scratch_load_b128 v[2:5], off, s19
	scratch_load_b128 v[6:9], off, s19 offset:64
	s_clause 0x1
	scratch_load_b64 v[18:19], v0, s10 scale_offset
	scratch_load_b64 v[20:21], v0, s10 offset:128 scale_offset
	s_clause 0x1
	scratch_load_b128 v[10:13], off, s19 offset:128
	scratch_load_b128 v[14:17], off, s19 offset:192
	s_clause 0x5
	scratch_load_b64 v[22:23], v0, s10 offset:256 scale_offset
	scratch_load_b64 v[24:25], v0, s10 offset:384 scale_offset
	;; [unrolled: 1-line block ×6, first 2 shown]
	s_add_nc_u64 s[20:21], s[8:9], s[2:3]
	s_clause 0x3
	global_load_b64 v[34:35], v0, s[20:21] scale_offset
	global_load_b64 v[36:37], v0, s[20:21] offset:64 scale_offset
	global_load_b64 v[38:39], v0, s[20:21] offset:128 scale_offset
	;; [unrolled: 1-line block ×3, first 2 shown]
	s_wait_xcnt 0x0
	s_add_nc_u64 s[20:21], s[4:5], s[12:13]
	s_delay_alu instid0(SALU_CYCLE_1) | instskip(NEXT) | instid1(SALU_CYCLE_1)
	s_add_nc_u64 s[20:21], s[20:21], s[16:17]
	s_add_nc_u64 s[20:21], s[20:21], s[2:3]
	s_wait_loadcnt 0xd
	v_fma_f64 v[2:3], v[2:3], v[18:19], 0
	s_wait_loadcnt 0xc
	v_fma_f64 v[6:7], v[6:7], v[20:21], 0
	;; [unrolled: 2-line block ×4, first 2 shown]
	s_wait_loadcnt 0x6
	s_delay_alu instid0(VALU_DEP_4) | instskip(NEXT) | instid1(VALU_DEP_4)
	v_fmac_f64_e32 v[2:3], v[4:5], v[28:29]
	v_fmac_f64_e32 v[6:7], v[8:9], v[26:27]
	s_wait_loadcnt 0x4
	s_delay_alu instid0(VALU_DEP_4) | instskip(NEXT) | instid1(VALU_DEP_4)
	v_fmac_f64_e32 v[10:11], v[12:13], v[32:33]
	v_fmac_f64_e32 v[14:15], v[16:17], v[30:31]
	s_wait_loadcnt 0x3
	s_delay_alu instid0(VALU_DEP_4) | instskip(SKIP_1) | instid1(VALU_DEP_4)
	v_mul_f64_e32 v[2:3], v[2:3], v[34:35]
	s_wait_loadcnt 0x2
	v_mul_f64_e32 v[4:5], v[6:7], v[36:37]
	s_wait_loadcnt 0x1
	s_delay_alu instid0(VALU_DEP_4) | instskip(SKIP_1) | instid1(VALU_DEP_4)
	v_mul_f64_e32 v[6:7], v[10:11], v[38:39]
	s_wait_loadcnt 0x0
	v_mul_f64_e32 v[8:9], v[14:15], v[40:41]
	v_lshl_add_u32 v10, v0, 3, s15
	v_mov_b32_e32 v14, s15
	ds_store_2addr_b64 v10, v[2:3], v[4:5] offset1:8
	ds_store_2addr_b64 v10, v[6:7], v[8:9] offset0:16 offset1:24
	s_wait_dscnt 0x0
	s_barrier_signal -1
	s_barrier_wait -1
	ds_load_b128 v[2:5], v14
	ds_load_b128 v[6:9], v14 offset:64
	s_wait_dscnt 0x0
	v_add_f64_e32 v[10:11], v[2:3], v[6:7]
	v_add_f64_e32 v[12:13], v[4:5], v[8:9]
	ds_load_b128 v[2:5], v14 offset:128
	ds_load_b128 v[6:9], v14 offset:192
	s_wait_dscnt 0x1
	v_add_f64_e32 v[2:3], v[10:11], v[2:3]
	v_add_f64_e32 v[4:5], v[12:13], v[4:5]
	s_wait_dscnt 0x0
	s_delay_alu instid0(VALU_DEP_2) | instskip(NEXT) | instid1(VALU_DEP_2)
	v_add_f64_e32 v[6:7], v[2:3], v[6:7]
	v_dual_add_f64 v[8:9], v[4:5], v[8:9] :: v_dual_mov_b32 v2, s11
	ds_load_b128 v[2:5], v2
	s_wait_dscnt 0x0
	v_mul_f64_e32 v[2:3], v[6:7], v[2:3]
	v_dual_mul_f64 v[4:5], v[8:9], v[4:5] :: v_dual_mov_b32 v6, 0
	global_store_b128 v6, v[2:5], s[20:21]
.LBB0_3:
	s_mov_b32 s19, 0
.LBB0_4:
	s_delay_alu instid0(SALU_CYCLE_1)
	s_and_not1_b32 vcc_lo, exec_lo, s19
	s_cbranch_vccnz .LBB0_9
; %bb.5:
	s_wait_xcnt 0x0
	v_lshlrev_b32_e32 v2, 3, v0
	s_cmp_lg_u32 s18, 1
	s_mov_b32 s11, -1
	s_cbranch_scc0 .LBB0_7
; %bb.6:
	s_add_nc_u64 s[6:7], s[6:7], s[12:13]
	s_delay_alu instid0(SALU_CYCLE_1) | instskip(NEXT) | instid1(SALU_CYCLE_1)
	s_add_nc_u64 s[6:7], s[6:7], s[16:17]
	s_add_nc_u64 s[6:7], s[6:7], s[2:3]
	s_clause 0x1
	scratch_load_b128 v[4:7], off, s10 offset:128
	scratch_load_b128 v[8:11], off, s10 offset:144
	global_load_b64 v[12:13], v0, s[6:7] offset:-2624 scale_offset
	s_wait_xcnt 0x1
	s_lshl_b32 s10, s14, 4
	s_wait_xcnt 0x0
	s_lshl_b32 s6, s14, 5
	v_add3_u32 v3, 0x140, s10, v2
	s_add_co_i32 s11, s6, 0x200
	s_add_nc_u64 s[6:7], s[8:9], s[2:3]
	s_wait_loadcnt 0x2
	scratch_store_b128 off, v[4:7], s11
	s_wait_loadcnt 0x1
	scratch_store_b128 off, v[8:11], s11 offset:16
	s_wait_loadcnt 0x0
	ds_store_b64 v3, v[12:13]
	s_wait_storecnt_dscnt 0x0
	s_barrier_signal -1
	s_barrier_wait -1
	s_clause 0x2
	scratch_load_b64 v[8:9], v0, s11 scale_offset
	global_load_b64 v[10:11], v0, s[6:7] offset:64 scale_offset
	scratch_load_b64 v[12:13], v0, s11 offset:16 scale_offset
	v_mov_b32_e32 v3, s10
	s_wait_xcnt 0x1
	s_add_nc_u64 s[6:7], s[4:5], s[12:13]
	s_wait_xcnt 0x0
	s_mov_b32 s11, 0
	s_add_nc_u64 s[6:7], s[6:7], s[2:3]
	ds_load_b128 v[4:7], v3 offset:320
	s_wait_loadcnt_dscnt 0x200
	v_fma_f64 v[4:5], v[4:5], v[8:9], 0
	ds_load_b64 v[8:9], v1
	v_add_nc_u32_e32 v1, s10, v2
	s_wait_loadcnt_dscnt 0x100
	v_mul_f64_e32 v[8:9], v[8:9], v[10:11]
	s_wait_loadcnt 0x0
	v_fmac_f64_e32 v[4:5], v[6:7], v[12:13]
	s_delay_alu instid0(VALU_DEP_1)
	v_mul_f64_e32 v[4:5], v[4:5], v[8:9]
	ds_store_b64 v1, v[4:5] offset:384
	s_wait_dscnt 0x0
	s_barrier_signal -1
	s_barrier_wait -1
	ds_load_b64 v[4:5], v1 offset:384
	s_wait_dscnt 0x0
	global_store_b64 v0, v[4:5], s[6:7] scale_offset
.LBB0_7:
	s_and_not1_b32 vcc_lo, exec_lo, s11
	s_cbranch_vccnz .LBB0_9
; %bb.8:
	s_load_b64 s[0:1], s[0:1], 0x28
	ds_load_b64 v[2:3], v2 offset:256
	s_wait_kmcnt 0x0
	s_add_nc_u64 s[0:1], s[0:1], s[2:3]
	global_load_b64 v[4:5], v0, s[0:1] scale_offset
	s_wait_xcnt 0x0
	s_add_nc_u64 s[0:1], s[4:5], s[2:3]
	s_wait_loadcnt_dscnt 0x0
	v_mul_f64_e32 v[2:3], v[4:5], v[2:3]
	global_store_b64 v0, v[2:3], s[0:1] offset:2624 scale_offset
.LBB0_9:
	s_endpgm
	.section	.rodata,"a",@progbits
	.p2align	6, 0x0
	.amdhsa_kernel _Z16pair_HMM_forwardiiPA41_A4_A2_KdPA4_A2_A3_S_S3_PA2_S1_PS0_PA41_A4_A2_d
		.amdhsa_group_segment_fixed_size 448
		.amdhsa_private_segment_fixed_size 784
		.amdhsa_kernarg_size 56
		.amdhsa_user_sgpr_count 2
		.amdhsa_user_sgpr_dispatch_ptr 0
		.amdhsa_user_sgpr_queue_ptr 0
		.amdhsa_user_sgpr_kernarg_segment_ptr 1
		.amdhsa_user_sgpr_dispatch_id 0
		.amdhsa_user_sgpr_kernarg_preload_length 0
		.amdhsa_user_sgpr_kernarg_preload_offset 0
		.amdhsa_user_sgpr_private_segment_size 0
		.amdhsa_wavefront_size32 1
		.amdhsa_uses_dynamic_stack 0
		.amdhsa_enable_private_segment 1
		.amdhsa_system_sgpr_workgroup_id_x 1
		.amdhsa_system_sgpr_workgroup_id_y 0
		.amdhsa_system_sgpr_workgroup_id_z 0
		.amdhsa_system_sgpr_workgroup_info 0
		.amdhsa_system_vgpr_workitem_id 0
		.amdhsa_next_free_vgpr 42
		.amdhsa_next_free_sgpr 46
		.amdhsa_named_barrier_count 0
		.amdhsa_reserve_vcc 1
		.amdhsa_float_round_mode_32 0
		.amdhsa_float_round_mode_16_64 0
		.amdhsa_float_denorm_mode_32 3
		.amdhsa_float_denorm_mode_16_64 3
		.amdhsa_fp16_overflow 0
		.amdhsa_memory_ordered 1
		.amdhsa_forward_progress 1
		.amdhsa_inst_pref_size 13
		.amdhsa_round_robin_scheduling 0
		.amdhsa_exception_fp_ieee_invalid_op 0
		.amdhsa_exception_fp_denorm_src 0
		.amdhsa_exception_fp_ieee_div_zero 0
		.amdhsa_exception_fp_ieee_overflow 0
		.amdhsa_exception_fp_ieee_underflow 0
		.amdhsa_exception_fp_ieee_inexact 0
		.amdhsa_exception_int_div_zero 0
	.end_amdhsa_kernel
	.text
.Lfunc_end0:
	.size	_Z16pair_HMM_forwardiiPA41_A4_A2_KdPA4_A2_A3_S_S3_PA2_S1_PS0_PA41_A4_A2_d, .Lfunc_end0-_Z16pair_HMM_forwardiiPA41_A4_A2_KdPA4_A2_A3_S_S3_PA2_S1_PS0_PA41_A4_A2_d
                                        ; -- End function
	.set _Z16pair_HMM_forwardiiPA41_A4_A2_KdPA4_A2_A3_S_S3_PA2_S1_PS0_PA41_A4_A2_d.num_vgpr, 42
	.set _Z16pair_HMM_forwardiiPA41_A4_A2_KdPA4_A2_A3_S_S3_PA2_S1_PS0_PA41_A4_A2_d.num_agpr, 0
	.set _Z16pair_HMM_forwardiiPA41_A4_A2_KdPA4_A2_A3_S_S3_PA2_S1_PS0_PA41_A4_A2_d.numbered_sgpr, 46
	.set _Z16pair_HMM_forwardiiPA41_A4_A2_KdPA4_A2_A3_S_S3_PA2_S1_PS0_PA41_A4_A2_d.num_named_barrier, 0
	.set _Z16pair_HMM_forwardiiPA41_A4_A2_KdPA4_A2_A3_S_S3_PA2_S1_PS0_PA41_A4_A2_d.private_seg_size, 784
	.set _Z16pair_HMM_forwardiiPA41_A4_A2_KdPA4_A2_A3_S_S3_PA2_S1_PS0_PA41_A4_A2_d.uses_vcc, 1
	.set _Z16pair_HMM_forwardiiPA41_A4_A2_KdPA4_A2_A3_S_S3_PA2_S1_PS0_PA41_A4_A2_d.uses_flat_scratch, 1
	.set _Z16pair_HMM_forwardiiPA41_A4_A2_KdPA4_A2_A3_S_S3_PA2_S1_PS0_PA41_A4_A2_d.has_dyn_sized_stack, 0
	.set _Z16pair_HMM_forwardiiPA41_A4_A2_KdPA4_A2_A3_S_S3_PA2_S1_PS0_PA41_A4_A2_d.has_recursion, 0
	.set _Z16pair_HMM_forwardiiPA41_A4_A2_KdPA4_A2_A3_S_S3_PA2_S1_PS0_PA41_A4_A2_d.has_indirect_call, 0
	.section	.AMDGPU.csdata,"",@progbits
; Kernel info:
; codeLenInByte = 1624
; TotalNumSgprs: 48
; NumVgprs: 42
; ScratchSize: 784
; MemoryBound: 1
; FloatMode: 240
; IeeeMode: 1
; LDSByteSize: 448 bytes/workgroup (compile time only)
; SGPRBlocks: 0
; VGPRBlocks: 2
; NumSGPRsForWavesPerEU: 48
; NumVGPRsForWavesPerEU: 42
; NamedBarCnt: 0
; Occupancy: 16
; WaveLimiterHint : 1
; COMPUTE_PGM_RSRC2:SCRATCH_EN: 1
; COMPUTE_PGM_RSRC2:USER_SGPR: 2
; COMPUTE_PGM_RSRC2:TRAP_HANDLER: 0
; COMPUTE_PGM_RSRC2:TGID_X_EN: 1
; COMPUTE_PGM_RSRC2:TGID_Y_EN: 0
; COMPUTE_PGM_RSRC2:TGID_Z_EN: 0
; COMPUTE_PGM_RSRC2:TIDIG_COMP_CNT: 0
	.text
	.p2alignl 7, 3214868480
	.fill 96, 4, 3214868480
	.section	.AMDGPU.gpr_maximums,"",@progbits
	.set amdgpu.max_num_vgpr, 0
	.set amdgpu.max_num_agpr, 0
	.set amdgpu.max_num_sgpr, 0
	.text
	.type	__hip_cuid_94033980c28971e5,@object ; @__hip_cuid_94033980c28971e5
	.section	.bss,"aw",@nobits
	.globl	__hip_cuid_94033980c28971e5
__hip_cuid_94033980c28971e5:
	.byte	0                               ; 0x0
	.size	__hip_cuid_94033980c28971e5, 1

	.ident	"AMD clang version 22.0.0git (https://github.com/RadeonOpenCompute/llvm-project roc-7.2.4 26084 f58b06dce1f9c15707c5f808fd002e18c2accf7e)"
	.section	".note.GNU-stack","",@progbits
	.addrsig
	.addrsig_sym __hip_cuid_94033980c28971e5
	.amdgpu_metadata
---
amdhsa.kernels:
  - .args:
      - .offset:         0
        .size:           4
        .value_kind:     by_value
      - .offset:         4
        .size:           4
        .value_kind:     by_value
      - .actual_access:  read_only
        .address_space:  global
        .offset:         8
        .size:           8
        .value_kind:     global_buffer
      - .actual_access:  read_only
        .address_space:  global
        .offset:         16
        .size:           8
        .value_kind:     global_buffer
      - .actual_access:  read_only
        .address_space:  global
        .offset:         24
        .size:           8
        .value_kind:     global_buffer
      - .actual_access:  read_only
        .address_space:  global
        .offset:         32
        .size:           8
        .value_kind:     global_buffer
      - .actual_access:  read_only
        .address_space:  global
        .offset:         40
        .size:           8
        .value_kind:     global_buffer
      - .actual_access:  write_only
        .address_space:  global
        .offset:         48
        .size:           8
        .value_kind:     global_buffer
    .group_segment_fixed_size: 448
    .kernarg_segment_align: 8
    .kernarg_segment_size: 56
    .language:       OpenCL C
    .language_version:
      - 2
      - 0
    .max_flat_workgroup_size: 1024
    .name:           _Z16pair_HMM_forwardiiPA41_A4_A2_KdPA4_A2_A3_S_S3_PA2_S1_PS0_PA41_A4_A2_d
    .private_segment_fixed_size: 784
    .sgpr_count:     48
    .sgpr_spill_count: 0
    .symbol:         _Z16pair_HMM_forwardiiPA41_A4_A2_KdPA4_A2_A3_S_S3_PA2_S1_PS0_PA41_A4_A2_d.kd
    .uniform_work_group_size: 1
    .uses_dynamic_stack: false
    .vgpr_count:     42
    .vgpr_spill_count: 0
    .wavefront_size: 32
amdhsa.target:   amdgcn-amd-amdhsa--gfx1250
amdhsa.version:
  - 1
  - 2
...

	.end_amdgpu_metadata
